;; amdgpu-corpus repo=ROCm/rocFFT kind=compiled arch=gfx906 opt=O3
	.text
	.amdgcn_target "amdgcn-amd-amdhsa--gfx906"
	.amdhsa_code_object_version 6
	.protected	fft_rtc_fwd_len420_factors_10_7_6_wgs_60_tpt_60_dp_ip_CI_sbrr_dirReg ; -- Begin function fft_rtc_fwd_len420_factors_10_7_6_wgs_60_tpt_60_dp_ip_CI_sbrr_dirReg
	.globl	fft_rtc_fwd_len420_factors_10_7_6_wgs_60_tpt_60_dp_ip_CI_sbrr_dirReg
	.p2align	8
	.type	fft_rtc_fwd_len420_factors_10_7_6_wgs_60_tpt_60_dp_ip_CI_sbrr_dirReg,@function
fft_rtc_fwd_len420_factors_10_7_6_wgs_60_tpt_60_dp_ip_CI_sbrr_dirReg: ; @fft_rtc_fwd_len420_factors_10_7_6_wgs_60_tpt_60_dp_ip_CI_sbrr_dirReg
; %bb.0:
	s_load_dwordx2 s[14:15], s[4:5], 0x18
	s_load_dwordx4 s[8:11], s[4:5], 0x0
	s_load_dwordx2 s[12:13], s[4:5], 0x50
	v_mul_u32_u24_e32 v1, 0x445, v0
	v_add_u32_sdwa v5, s6, v1 dst_sel:DWORD dst_unused:UNUSED_PAD src0_sel:DWORD src1_sel:WORD_1
	s_waitcnt lgkmcnt(0)
	s_load_dwordx2 s[2:3], s[14:15], 0x0
	v_cmp_lt_u64_e64 s[0:1], s[10:11], 2
	v_mov_b32_e32 v3, 0
	v_mov_b32_e32 v1, 0
	;; [unrolled: 1-line block ×3, first 2 shown]
	s_and_b64 vcc, exec, s[0:1]
	v_mov_b32_e32 v2, 0
	s_cbranch_vccnz .LBB0_8
; %bb.1:
	s_load_dwordx2 s[0:1], s[4:5], 0x10
	s_add_u32 s6, s14, 8
	s_addc_u32 s7, s15, 0
	v_mov_b32_e32 v1, 0
	v_mov_b32_e32 v2, 0
	s_waitcnt lgkmcnt(0)
	s_add_u32 s16, s0, 8
	s_addc_u32 s17, s1, 0
	s_mov_b64 s[18:19], 1
.LBB0_2:                                ; =>This Inner Loop Header: Depth=1
	s_load_dwordx2 s[20:21], s[16:17], 0x0
                                        ; implicit-def: $vgpr7_vgpr8
	s_waitcnt lgkmcnt(0)
	v_or_b32_e32 v4, s21, v6
	v_cmp_ne_u64_e32 vcc, 0, v[3:4]
	s_and_saveexec_b64 s[0:1], vcc
	s_xor_b64 s[22:23], exec, s[0:1]
	s_cbranch_execz .LBB0_4
; %bb.3:                                ;   in Loop: Header=BB0_2 Depth=1
	v_cvt_f32_u32_e32 v4, s20
	v_cvt_f32_u32_e32 v7, s21
	s_sub_u32 s0, 0, s20
	s_subb_u32 s1, 0, s21
	v_mac_f32_e32 v4, 0x4f800000, v7
	v_rcp_f32_e32 v4, v4
	v_mul_f32_e32 v4, 0x5f7ffffc, v4
	v_mul_f32_e32 v7, 0x2f800000, v4
	v_trunc_f32_e32 v7, v7
	v_mac_f32_e32 v4, 0xcf800000, v7
	v_cvt_u32_f32_e32 v7, v7
	v_cvt_u32_f32_e32 v4, v4
	v_mul_lo_u32 v8, s0, v7
	v_mul_hi_u32 v9, s0, v4
	v_mul_lo_u32 v11, s1, v4
	v_mul_lo_u32 v10, s0, v4
	v_add_u32_e32 v8, v9, v8
	v_add_u32_e32 v8, v8, v11
	v_mul_hi_u32 v9, v4, v10
	v_mul_lo_u32 v11, v4, v8
	v_mul_hi_u32 v13, v4, v8
	v_mul_hi_u32 v12, v7, v10
	v_mul_lo_u32 v10, v7, v10
	v_mul_hi_u32 v14, v7, v8
	v_add_co_u32_e32 v9, vcc, v9, v11
	v_addc_co_u32_e32 v11, vcc, 0, v13, vcc
	v_mul_lo_u32 v8, v7, v8
	v_add_co_u32_e32 v9, vcc, v9, v10
	v_addc_co_u32_e32 v9, vcc, v11, v12, vcc
	v_addc_co_u32_e32 v10, vcc, 0, v14, vcc
	v_add_co_u32_e32 v8, vcc, v9, v8
	v_addc_co_u32_e32 v9, vcc, 0, v10, vcc
	v_add_co_u32_e32 v4, vcc, v4, v8
	v_addc_co_u32_e32 v7, vcc, v7, v9, vcc
	v_mul_lo_u32 v8, s0, v7
	v_mul_hi_u32 v9, s0, v4
	v_mul_lo_u32 v10, s1, v4
	v_mul_lo_u32 v11, s0, v4
	v_add_u32_e32 v8, v9, v8
	v_add_u32_e32 v8, v8, v10
	v_mul_lo_u32 v12, v4, v8
	v_mul_hi_u32 v13, v4, v11
	v_mul_hi_u32 v14, v4, v8
	;; [unrolled: 1-line block ×3, first 2 shown]
	v_mul_lo_u32 v11, v7, v11
	v_mul_hi_u32 v9, v7, v8
	v_add_co_u32_e32 v12, vcc, v13, v12
	v_addc_co_u32_e32 v13, vcc, 0, v14, vcc
	v_mul_lo_u32 v8, v7, v8
	v_add_co_u32_e32 v11, vcc, v12, v11
	v_addc_co_u32_e32 v10, vcc, v13, v10, vcc
	v_addc_co_u32_e32 v9, vcc, 0, v9, vcc
	v_add_co_u32_e32 v8, vcc, v10, v8
	v_addc_co_u32_e32 v9, vcc, 0, v9, vcc
	v_add_co_u32_e32 v4, vcc, v4, v8
	v_addc_co_u32_e32 v9, vcc, v7, v9, vcc
	v_mad_u64_u32 v[7:8], s[0:1], v5, v9, 0
	v_mul_hi_u32 v10, v5, v4
	v_add_co_u32_e32 v11, vcc, v10, v7
	v_addc_co_u32_e32 v12, vcc, 0, v8, vcc
	v_mad_u64_u32 v[7:8], s[0:1], v6, v4, 0
	v_mad_u64_u32 v[9:10], s[0:1], v6, v9, 0
	v_add_co_u32_e32 v4, vcc, v11, v7
	v_addc_co_u32_e32 v4, vcc, v12, v8, vcc
	v_addc_co_u32_e32 v7, vcc, 0, v10, vcc
	v_add_co_u32_e32 v4, vcc, v4, v9
	v_addc_co_u32_e32 v9, vcc, 0, v7, vcc
	v_mul_lo_u32 v10, s21, v4
	v_mul_lo_u32 v11, s20, v9
	v_mad_u64_u32 v[7:8], s[0:1], s20, v4, 0
	v_add3_u32 v8, v8, v11, v10
	v_sub_u32_e32 v10, v6, v8
	v_mov_b32_e32 v11, s21
	v_sub_co_u32_e32 v7, vcc, v5, v7
	v_subb_co_u32_e64 v10, s[0:1], v10, v11, vcc
	v_subrev_co_u32_e64 v11, s[0:1], s20, v7
	v_subbrev_co_u32_e64 v10, s[0:1], 0, v10, s[0:1]
	v_cmp_le_u32_e64 s[0:1], s21, v10
	v_cndmask_b32_e64 v12, 0, -1, s[0:1]
	v_cmp_le_u32_e64 s[0:1], s20, v11
	v_cndmask_b32_e64 v11, 0, -1, s[0:1]
	v_cmp_eq_u32_e64 s[0:1], s21, v10
	v_cndmask_b32_e64 v10, v12, v11, s[0:1]
	v_add_co_u32_e64 v11, s[0:1], 2, v4
	v_addc_co_u32_e64 v12, s[0:1], 0, v9, s[0:1]
	v_add_co_u32_e64 v13, s[0:1], 1, v4
	v_addc_co_u32_e64 v14, s[0:1], 0, v9, s[0:1]
	v_subb_co_u32_e32 v8, vcc, v6, v8, vcc
	v_cmp_ne_u32_e64 s[0:1], 0, v10
	v_cmp_le_u32_e32 vcc, s21, v8
	v_cndmask_b32_e64 v10, v14, v12, s[0:1]
	v_cndmask_b32_e64 v12, 0, -1, vcc
	v_cmp_le_u32_e32 vcc, s20, v7
	v_cndmask_b32_e64 v7, 0, -1, vcc
	v_cmp_eq_u32_e32 vcc, s21, v8
	v_cndmask_b32_e32 v7, v12, v7, vcc
	v_cmp_ne_u32_e32 vcc, 0, v7
	v_cndmask_b32_e64 v7, v13, v11, s[0:1]
	v_cndmask_b32_e32 v8, v9, v10, vcc
	v_cndmask_b32_e32 v7, v4, v7, vcc
.LBB0_4:                                ;   in Loop: Header=BB0_2 Depth=1
	s_andn2_saveexec_b64 s[0:1], s[22:23]
	s_cbranch_execz .LBB0_6
; %bb.5:                                ;   in Loop: Header=BB0_2 Depth=1
	v_cvt_f32_u32_e32 v4, s20
	s_sub_i32 s22, 0, s20
	v_rcp_iflag_f32_e32 v4, v4
	v_mul_f32_e32 v4, 0x4f7ffffe, v4
	v_cvt_u32_f32_e32 v4, v4
	v_mul_lo_u32 v7, s22, v4
	v_mul_hi_u32 v7, v4, v7
	v_add_u32_e32 v4, v4, v7
	v_mul_hi_u32 v4, v5, v4
	v_mul_lo_u32 v7, v4, s20
	v_add_u32_e32 v8, 1, v4
	v_sub_u32_e32 v7, v5, v7
	v_subrev_u32_e32 v9, s20, v7
	v_cmp_le_u32_e32 vcc, s20, v7
	v_cndmask_b32_e32 v7, v7, v9, vcc
	v_cndmask_b32_e32 v4, v4, v8, vcc
	v_add_u32_e32 v8, 1, v4
	v_cmp_le_u32_e32 vcc, s20, v7
	v_cndmask_b32_e32 v7, v4, v8, vcc
	v_mov_b32_e32 v8, v3
.LBB0_6:                                ;   in Loop: Header=BB0_2 Depth=1
	s_or_b64 exec, exec, s[0:1]
	v_mul_lo_u32 v4, v8, s20
	v_mul_lo_u32 v11, v7, s21
	v_mad_u64_u32 v[9:10], s[0:1], v7, s20, 0
	s_load_dwordx2 s[0:1], s[6:7], 0x0
	s_add_u32 s18, s18, 1
	v_add3_u32 v4, v10, v11, v4
	v_sub_co_u32_e32 v5, vcc, v5, v9
	v_subb_co_u32_e32 v4, vcc, v6, v4, vcc
	s_waitcnt lgkmcnt(0)
	v_mul_lo_u32 v4, s0, v4
	v_mul_lo_u32 v6, s1, v5
	v_mad_u64_u32 v[1:2], s[0:1], s0, v5, v[1:2]
	s_addc_u32 s19, s19, 0
	s_add_u32 s6, s6, 8
	v_add3_u32 v2, v6, v2, v4
	v_mov_b32_e32 v4, s10
	v_mov_b32_e32 v5, s11
	s_addc_u32 s7, s7, 0
	v_cmp_ge_u64_e32 vcc, s[18:19], v[4:5]
	s_add_u32 s16, s16, 8
	s_addc_u32 s17, s17, 0
	s_cbranch_vccnz .LBB0_9
; %bb.7:                                ;   in Loop: Header=BB0_2 Depth=1
	v_mov_b32_e32 v5, v7
	v_mov_b32_e32 v6, v8
	s_branch .LBB0_2
.LBB0_8:
	v_mov_b32_e32 v8, v6
	v_mov_b32_e32 v7, v5
.LBB0_9:
	s_lshl_b64 s[0:1], s[10:11], 3
	s_add_u32 s0, s14, s0
	s_addc_u32 s1, s15, s1
	s_load_dwordx2 s[6:7], s[0:1], 0x0
	s_load_dwordx2 s[10:11], s[4:5], 0x20
	s_waitcnt lgkmcnt(0)
	v_mad_u64_u32 v[1:2], s[0:1], s6, v7, v[1:2]
	s_mov_b32 s0, 0x4444445
	v_mul_lo_u32 v3, s6, v8
	v_mul_lo_u32 v4, s7, v7
	v_mul_hi_u32 v5, v0, s0
	v_cmp_gt_u64_e32 vcc, s[10:11], v[7:8]
	v_add3_u32 v2, v4, v2, v3
	v_mul_u32_u24_e32 v3, 60, v5
	v_sub_u32_e32 v111, v0, v3
	v_lshlrev_b64 v[52:53], 4, v[1:2]
	v_lshl_add_u32 v110, v111, 4, 0
	v_add_u32_e32 v112, 60, v111
	s_and_saveexec_b64 s[4:5], vcc
	s_cbranch_execz .LBB0_11
; %bb.10:
	v_mad_u64_u32 v[0:1], s[0:1], s2, v111, 0
	v_add_u32_e32 v8, 0x78, v111
	v_add_u32_e32 v16, 0xb4, v111
	v_mad_u64_u32 v[1:2], s[0:1], s3, v111, v[1:2]
	v_mov_b32_e32 v2, s13
	v_add_co_u32_e64 v30, s[0:1], s12, v52
	v_addc_co_u32_e64 v31, s[0:1], v2, v53, s[0:1]
	v_mad_u64_u32 v[2:3], s[0:1], s2, v112, 0
	v_mad_u64_u32 v[4:5], s[0:1], s2, v8, 0
	v_lshlrev_b64 v[0:1], 4, v[0:1]
	v_mad_u64_u32 v[6:7], s[0:1], s3, v112, v[3:4]
	v_mov_b32_e32 v3, v5
	v_mad_u64_u32 v[7:8], s[0:1], s3, v8, v[3:4]
	v_add_co_u32_e64 v8, s[0:1], v30, v0
	v_addc_co_u32_e64 v9, s[0:1], v31, v1, s[0:1]
	v_mov_b32_e32 v3, v6
	v_mad_u64_u32 v[12:13], s[0:1], s2, v16, 0
	v_lshlrev_b64 v[0:1], 4, v[2:3]
	v_mov_b32_e32 v5, v7
	v_add_co_u32_e64 v14, s[0:1], v30, v0
	v_lshlrev_b64 v[10:11], 4, v[4:5]
	v_addc_co_u32_e64 v15, s[0:1], v31, v1, s[0:1]
	global_load_dwordx4 v[0:3], v[8:9], off
	global_load_dwordx4 v[4:7], v[14:15], off
	v_mov_b32_e32 v8, v13
	v_mad_u64_u32 v[8:9], s[0:1], s3, v16, v[8:9]
	v_add_co_u32_e64 v16, s[0:1], v30, v10
	v_mov_b32_e32 v13, v8
	v_lshlrev_b64 v[8:9], 4, v[12:13]
	v_addc_co_u32_e64 v17, s[0:1], v31, v11, s[0:1]
	v_add_co_u32_e64 v18, s[0:1], v30, v8
	v_addc_co_u32_e64 v19, s[0:1], v31, v9, s[0:1]
	v_add_u32_e32 v9, 0xf0, v111
	v_mad_u64_u32 v[20:21], s[0:1], s2, v9, 0
	v_add_u32_e32 v10, 0x12c, v111
	v_mad_u64_u32 v[22:23], s[0:1], s2, v10, 0
	v_mov_b32_e32 v8, v21
	v_mad_u64_u32 v[24:25], s[0:1], s3, v9, v[8:9]
	v_add_u32_e32 v9, 0x168, v111
	v_mad_u64_u32 v[25:26], s[0:1], s2, v9, 0
	v_mov_b32_e32 v8, v23
	v_mad_u64_u32 v[27:28], s[0:1], s3, v10, v[8:9]
	v_mov_b32_e32 v8, v26
	v_mad_u64_u32 v[28:29], s[0:1], s3, v9, v[8:9]
	v_mov_b32_e32 v21, v24
	global_load_dwordx4 v[8:11], v[16:17], off
	global_load_dwordx4 v[12:15], v[18:19], off
	v_lshlrev_b64 v[16:17], 4, v[20:21]
	v_mov_b32_e32 v23, v27
	v_mov_b32_e32 v26, v28
	v_lshlrev_b64 v[18:19], 4, v[22:23]
	v_lshlrev_b64 v[24:25], 4, v[25:26]
	v_add_co_u32_e64 v26, s[0:1], v30, v16
	v_addc_co_u32_e64 v27, s[0:1], v31, v17, s[0:1]
	v_add_co_u32_e64 v28, s[0:1], v30, v18
	v_addc_co_u32_e64 v29, s[0:1], v31, v19, s[0:1]
	global_load_dwordx4 v[16:19], v[26:27], off
	global_load_dwordx4 v[20:23], v[28:29], off
	v_add_co_u32_e64 v24, s[0:1], v30, v24
	v_addc_co_u32_e64 v25, s[0:1], v31, v25, s[0:1]
	global_load_dwordx4 v[24:27], v[24:25], off
	s_waitcnt vmcnt(6)
	ds_write_b128 v110, v[0:3]
	s_waitcnt vmcnt(5)
	ds_write_b128 v110, v[4:7] offset:960
	s_waitcnt vmcnt(4)
	ds_write_b128 v110, v[8:11] offset:1920
	;; [unrolled: 2-line block ×6, first 2 shown]
.LBB0_11:
	s_or_b64 exec, exec, s[4:5]
	s_waitcnt lgkmcnt(0)
	; wave barrier
	s_waitcnt lgkmcnt(0)
	ds_read_b128 v[12:15], v110 offset:2688
	ds_read_b128 v[16:19], v110 offset:1344
	;; [unrolled: 1-line block ×6, first 2 shown]
	s_waitcnt lgkmcnt(4)
	v_add_f64 v[0:1], v[16:17], -v[12:13]
	s_waitcnt lgkmcnt(3)
	v_add_f64 v[2:3], v[16:17], v[20:21]
	s_waitcnt lgkmcnt(2)
	v_add_f64 v[4:5], v[20:21], -v[24:25]
	ds_read_b128 v[44:47], v110
	ds_read_b128 v[48:51], v110 offset:672
	v_add_f64 v[6:7], v[12:13], -v[16:17]
	v_add_f64 v[8:9], v[24:25], -v[20:21]
	;; [unrolled: 1-line block ×3, first 2 shown]
	s_mov_b32 s14, 0x134454ff
	s_waitcnt lgkmcnt(1)
	v_fma_f64 v[2:3], v[2:3], -0.5, v[44:45]
	v_add_f64 v[64:65], v[0:1], v[4:5]
	v_add_f64 v[0:1], v[18:19], v[22:23]
	s_mov_b32 s15, 0x3fee6f0e
	s_mov_b32 s1, 0xbfee6f0e
	;; [unrolled: 1-line block ×3, first 2 shown]
	v_add_f64 v[4:5], v[6:7], v[8:9]
	v_add_f64 v[68:69], v[18:19], -v[22:23]
	v_fma_f64 v[6:7], v[62:63], s[0:1], v[2:3]
	v_add_f64 v[66:67], v[12:13], -v[24:25]
	v_fma_f64 v[0:1], v[0:1], -0.5, v[46:47]
	v_fma_f64 v[2:3], v[62:63], s[14:15], v[2:3]
	s_mov_b32 s4, 0x4755a5e
	s_mov_b32 s5, 0x3fe2cf23
	;; [unrolled: 1-line block ×4, first 2 shown]
	v_fma_f64 v[6:7], v[68:69], s[4:5], v[6:7]
	v_add_f64 v[8:9], v[14:15], -v[18:19]
	v_add_f64 v[10:11], v[26:27], -v[22:23]
	v_fma_f64 v[54:55], v[66:67], s[14:15], v[0:1]
	v_add_f64 v[70:71], v[16:17], -v[20:21]
	v_fma_f64 v[0:1], v[66:67], s[0:1], v[0:1]
	v_fma_f64 v[2:3], v[68:69], s[10:11], v[2:3]
	ds_read_b128 v[32:35], v110 offset:6048
	ds_read_b128 v[36:39], v110 offset:4704
	s_mov_b32 s6, 0x372fe950
	s_mov_b32 s7, 0x3fd3c6ef
	v_add_f64 v[58:59], v[18:19], -v[14:15]
	v_add_f64 v[60:61], v[22:23], -v[26:27]
	v_add_f64 v[8:9], v[8:9], v[10:11]
	v_fma_f64 v[10:11], v[70:71], s[10:11], v[54:55]
	v_fma_f64 v[0:1], v[70:71], s[4:5], v[0:1]
	s_waitcnt lgkmcnt(1)
	v_add_f64 v[72:73], v[28:29], v[32:33]
	v_fma_f64 v[54:55], v[4:5], s[6:7], v[6:7]
	v_fma_f64 v[56:57], v[4:5], s[6:7], v[2:3]
	v_add_f64 v[2:3], v[40:41], -v[28:29]
	s_waitcnt lgkmcnt(0)
	v_add_f64 v[4:5], v[36:37], -v[32:33]
	v_add_f64 v[6:7], v[30:31], v[34:35]
	v_add_f64 v[74:75], v[28:29], -v[40:41]
	v_add_f64 v[76:77], v[32:33], -v[36:37]
	v_fma_f64 v[72:73], v[72:73], -0.5, v[48:49]
	v_add_f64 v[86:87], v[42:43], -v[38:39]
	v_add_f64 v[80:81], v[58:59], v[60:61]
	v_fma_f64 v[58:59], v[8:9], s[6:7], v[10:11]
	v_fma_f64 v[60:61], v[8:9], s[6:7], v[0:1]
	v_add_f64 v[0:1], v[2:3], v[4:5]
	v_fma_f64 v[2:3], v[6:7], -0.5, v[50:51]
	v_add_f64 v[84:85], v[40:41], -v[36:37]
	v_add_f64 v[6:7], v[40:41], v[36:37]
	v_add_f64 v[8:9], v[42:43], v[38:39]
	;; [unrolled: 1-line block ×3, first 2 shown]
	v_fma_f64 v[4:5], v[86:87], s[0:1], v[72:73]
	v_add_f64 v[92:93], v[30:31], -v[34:35]
	v_fma_f64 v[10:11], v[86:87], s[14:15], v[72:73]
	v_add_f64 v[72:73], v[42:43], -v[30:31]
	v_add_f64 v[74:75], v[38:39], -v[34:35]
	v_fma_f64 v[76:77], v[84:85], s[14:15], v[2:3]
	v_add_f64 v[106:107], v[28:29], -v[32:33]
	v_fma_f64 v[104:105], v[6:7], -0.5, v[48:49]
	v_fma_f64 v[94:95], v[8:9], -0.5, v[50:51]
	v_add_f64 v[8:9], v[30:31], -v[42:43]
	v_fma_f64 v[6:7], v[92:93], s[10:11], v[10:11]
	v_fma_f64 v[2:3], v[84:85], s[0:1], v[2:3]
	v_add_f64 v[10:11], v[72:73], v[74:75]
	v_add_f64 v[74:75], v[34:35], -v[38:39]
	v_fma_f64 v[72:73], v[106:107], s[10:11], v[76:77]
	v_fma_f64 v[76:77], v[92:93], s[0:1], v[104:105]
	;; [unrolled: 1-line block ×3, first 2 shown]
	v_add_f64 v[88:89], v[12:13], v[24:25]
	v_add_f64 v[90:91], v[14:15], v[26:27]
	v_fma_f64 v[4:5], v[92:93], s[4:5], v[4:5]
	v_fma_f64 v[2:3], v[106:107], s[4:5], v[2:3]
	v_add_f64 v[108:109], v[8:9], v[74:75]
	v_fma_f64 v[96:97], v[10:11], s[6:7], v[72:73]
	v_fma_f64 v[8:9], v[86:87], s[10:11], v[76:77]
	;; [unrolled: 1-line block ×3, first 2 shown]
	v_fma_f64 v[98:99], v[88:89], -0.5, v[44:45]
	v_fma_f64 v[102:103], v[90:91], -0.5, v[46:47]
	v_fma_f64 v[4:5], v[0:1], s[6:7], v[4:5]
	v_fma_f64 v[0:1], v[0:1], s[6:7], v[6:7]
	;; [unrolled: 1-line block ×3, first 2 shown]
	s_mov_b32 s16, 0x9b97f4a8
	v_fma_f64 v[8:9], v[82:83], s[6:7], v[8:9]
	v_fma_f64 v[76:77], v[108:109], s[6:7], v[72:73]
	;; [unrolled: 1-line block ×4, first 2 shown]
	s_mov_b32 s17, 0x3fe9e377
	v_mul_f64 v[6:7], v[96:97], s[14:15]
	v_mul_f64 v[10:11], v[4:5], s[0:1]
	;; [unrolled: 1-line block ×6, first 2 shown]
	v_fma_f64 v[115:116], v[62:63], s[10:11], v[72:73]
	v_fma_f64 v[117:118], v[66:67], s[4:5], v[74:75]
	;; [unrolled: 1-line block ×4, first 2 shown]
	v_fma_f64 v[74:75], v[2:3], s[14:15], -v[78:79]
	v_fma_f64 v[90:91], v[0:1], s[0:1], -v[90:91]
	;; [unrolled: 1-line block ×4, first 2 shown]
	v_fma_f64 v[78:79], v[64:65], s[6:7], v[115:116]
	v_fma_f64 v[100:101], v[80:81], s[6:7], v[117:118]
	v_add_f64 v[0:1], v[54:55], -v[72:73]
	v_add_f64 v[2:3], v[58:59], -v[88:89]
	;; [unrolled: 1-line block ×4, first 2 shown]
	v_cmp_gt_u32_e64 s[0:1], 42, v111
	v_add_f64 v[8:9], v[78:79], -v[76:77]
	v_add_f64 v[10:11], v[100:101], -v[96:97]
	; wave barrier
	s_and_saveexec_b64 s[10:11], s[0:1]
	s_cbranch_execz .LBB0_13
; %bb.12:
	v_mul_f64 v[92:93], v[92:93], s[14:15]
	v_mul_f64 v[86:87], v[86:87], s[4:5]
	;; [unrolled: 1-line block ×3, first 2 shown]
	v_add_f64 v[18:19], v[46:47], v[18:19]
	v_add_f64 v[30:31], v[50:51], v[30:31]
	;; [unrolled: 1-line block ×4, first 2 shown]
	v_mul_f64 v[68:69], v[68:69], s[14:15]
	v_add_f64 v[92:93], v[104:105], v[92:93]
	v_mul_f64 v[70:71], v[70:71], s[14:15]
	v_mul_f64 v[82:83], v[82:83], s[6:7]
	;; [unrolled: 1-line block ×3, first 2 shown]
	v_add_f64 v[50:51], v[94:95], -v[106:107]
	v_add_f64 v[14:15], v[18:19], v[14:15]
	v_add_f64 v[18:19], v[30:31], v[42:43]
	;; [unrolled: 1-line block ×5, first 2 shown]
	v_mul_f64 v[62:63], v[62:63], s[4:5]
	v_mul_f64 v[66:67], v[66:67], s[4:5]
	;; [unrolled: 1-line block ×3, first 2 shown]
	v_add_f64 v[44:45], v[102:103], -v[70:71]
	v_add_f64 v[30:31], v[98:99], v[68:69]
	v_add_f64 v[42:43], v[50:51], -v[84:85]
	v_add_f64 v[48:49], v[82:83], v[86:87]
	v_add_f64 v[14:15], v[14:15], v[26:27]
	;; [unrolled: 1-line block ×5, first 2 shown]
	v_mul_f64 v[64:65], v[64:65], s[6:7]
	v_mul_f64 v[80:81], v[80:81], s[6:7]
	v_add_f64 v[28:29], v[44:45], -v[66:67]
	v_add_f64 v[26:27], v[62:63], v[30:31]
	v_add_f64 v[30:31], v[46:47], v[42:43]
	v_mul_f64 v[38:39], v[48:49], s[4:5]
	v_mul_f64 v[40:41], v[48:49], s[16:17]
	v_add_f64 v[36:37], v[14:15], v[22:23]
	v_add_f64 v[42:43], v[18:19], v[34:35]
	;; [unrolled: 1-line block ×6, first 2 shown]
	v_fma_f64 v[34:35], v[30:31], s[16:17], -v[38:39]
	v_fma_f64 v[40:41], v[30:31], s[4:5], v[40:41]
	v_add_f64 v[30:31], v[58:59], v[88:89]
	v_add_f64 v[22:23], v[36:37], -v[42:43]
	v_add_f64 v[38:39], v[36:37], v[42:43]
	v_add_f64 v[36:37], v[20:21], v[46:47]
	;; [unrolled: 1-line block ×4, first 2 shown]
	v_add_f64 v[26:27], v[28:29], -v[34:35]
	v_add_f64 v[34:35], v[28:29], v[34:35]
	v_add_f64 v[32:33], v[44:45], v[40:41]
	;; [unrolled: 1-line block ×5, first 2 shown]
	v_add_f64 v[20:21], v[20:21], -v[46:47]
	v_add_f64 v[24:25], v[44:45], -v[40:41]
	s_movk_i32 s0, 0x90
	v_mad_u32_u24 v40, v111, s0, v110
	ds_write_b128 v40, v[36:39]
	ds_write_b128 v40, v[32:35] offset:16
	ds_write_b128 v40, v[28:31] offset:32
	ds_write_b128 v40, v[16:19] offset:48
	ds_write_b128 v40, v[12:15] offset:64
	ds_write_b128 v40, v[20:23] offset:80
	ds_write_b128 v40, v[24:27] offset:96
	ds_write_b128 v40, v[0:3] offset:112
	ds_write_b128 v40, v[4:7] offset:128
	ds_write_b128 v40, v[8:11] offset:144
.LBB0_13:
	s_or_b64 exec, exec, s[10:11]
	s_movk_i32 s0, 0xcd
	v_mul_lo_u16_sdwa v12, v111, s0 dst_sel:DWORD dst_unused:UNUSED_PAD src0_sel:BYTE_0 src1_sel:DWORD
	v_lshrrev_b16_e32 v66, 11, v12
	v_mul_lo_u16_e32 v12, 10, v66
	v_sub_u16_e32 v67, v111, v12
	v_mov_b32_e32 v12, 6
	v_mul_u32_u24_sdwa v12, v67, v12 dst_sel:DWORD dst_unused:UNUSED_PAD src0_sel:BYTE_0 src1_sel:DWORD
	v_lshlrev_b32_e32 v36, 4, v12
	s_waitcnt lgkmcnt(0)
	; wave barrier
	s_waitcnt lgkmcnt(0)
	global_load_dwordx4 v[12:15], v36, s[8:9]
	global_load_dwordx4 v[16:19], v36, s[8:9] offset:16
	global_load_dwordx4 v[20:23], v36, s[8:9] offset:32
	;; [unrolled: 1-line block ×5, first 2 shown]
	ds_read_b128 v[36:39], v110
	ds_read_b128 v[40:43], v110 offset:960
	ds_read_b128 v[44:47], v110 offset:1920
	;; [unrolled: 1-line block ×6, first 2 shown]
	v_mov_b32_e32 v68, 4
	v_mul_u32_u24_e32 v78, 0x460, v66
	v_lshlrev_b32_sdwa v79, v68, v67 dst_sel:DWORD dst_unused:UNUSED_PAD src0_sel:DWORD src1_sel:BYTE_0
	s_mov_b32 s4, 0x37e14327
	s_mov_b32 s0, 0x36b3c0b5
	;; [unrolled: 1-line block ×16, first 2 shown]
	s_waitcnt lgkmcnt(0)
	; wave barrier
	s_waitcnt vmcnt(5) lgkmcnt(0)
	v_mul_f64 v[66:67], v[42:43], v[14:15]
	v_mul_f64 v[14:15], v[40:41], v[14:15]
	s_waitcnt vmcnt(4)
	v_mul_f64 v[68:69], v[46:47], v[18:19]
	v_mul_f64 v[18:19], v[44:45], v[18:19]
	s_waitcnt vmcnt(3)
	;; [unrolled: 3-line block ×4, first 2 shown]
	v_mul_f64 v[76:77], v[60:61], v[34:35]
	v_mul_f64 v[34:35], v[58:59], v[34:35]
	;; [unrolled: 1-line block ×4, first 2 shown]
	v_fma_f64 v[40:41], v[40:41], v[12:13], -v[66:67]
	v_fma_f64 v[12:13], v[42:43], v[12:13], v[14:15]
	v_fma_f64 v[14:15], v[44:45], v[16:17], -v[68:69]
	v_fma_f64 v[16:17], v[46:47], v[16:17], v[18:19]
	;; [unrolled: 2-line block ×6, first 2 shown]
	v_add_f64 v[26:27], v[40:41], v[18:19]
	v_add_f64 v[42:43], v[12:13], v[28:29]
	v_add_f64 v[18:19], v[40:41], -v[18:19]
	v_add_f64 v[12:13], v[12:13], -v[28:29]
	v_add_f64 v[28:29], v[14:15], v[22:23]
	v_add_f64 v[40:41], v[16:17], v[32:33]
	v_add_f64 v[14:15], v[14:15], -v[22:23]
	v_add_f64 v[16:17], v[16:17], -v[32:33]
	;; [unrolled: 4-line block ×4, first 2 shown]
	v_add_f64 v[26:27], v[26:27], -v[22:23]
	v_add_f64 v[42:43], v[42:43], -v[32:33]
	;; [unrolled: 1-line block ×4, first 2 shown]
	v_add_f64 v[48:49], v[30:31], v[14:15]
	v_add_f64 v[50:51], v[20:21], v[16:17]
	v_add_f64 v[54:55], v[30:31], -v[14:15]
	v_add_f64 v[56:57], v[20:21], -v[16:17]
	v_add_f64 v[22:23], v[22:23], v[24:25]
	v_add_f64 v[24:25], v[32:33], v[34:35]
	v_add_f64 v[14:15], v[14:15], -v[18:19]
	v_add_f64 v[58:59], v[16:17], -v[12:13]
	;; [unrolled: 1-line block ×4, first 2 shown]
	v_add_f64 v[32:33], v[48:49], v[18:19]
	v_add_f64 v[12:13], v[50:51], v[12:13]
	v_mul_f64 v[26:27], v[26:27], s[4:5]
	v_mul_f64 v[34:35], v[42:43], s[4:5]
	;; [unrolled: 1-line block ×6, first 2 shown]
	v_add_f64 v[16:17], v[36:37], v[22:23]
	v_add_f64 v[18:19], v[38:39], v[24:25]
	v_mul_f64 v[56:57], v[14:15], s[6:7]
	v_mul_f64 v[60:61], v[58:59], s[6:7]
	v_fma_f64 v[28:29], v[28:29], s[0:1], v[26:27]
	v_fma_f64 v[36:37], v[40:41], s[0:1], v[34:35]
	v_fma_f64 v[38:39], v[44:45], s[16:17], -v[42:43]
	v_fma_f64 v[40:41], v[46:47], s[16:17], -v[48:49]
	s_mov_b32 s17, 0xbfe77f67
	v_fma_f64 v[42:43], v[30:31], s[18:19], v[50:51]
	v_fma_f64 v[48:49], v[20:21], s[18:19], v[54:55]
	v_fma_f64 v[14:15], v[14:15], s[6:7], -v[50:51]
	v_fma_f64 v[50:51], v[58:59], s[6:7], -v[54:55]
	s_mov_b32 s19, 0xbfd5d0dc
	v_fma_f64 v[22:23], v[22:23], s[10:11], v[16:17]
	v_fma_f64 v[24:25], v[24:25], s[10:11], v[18:19]
	v_fma_f64 v[26:27], v[44:45], s[16:17], -v[26:27]
	v_fma_f64 v[34:35], v[46:47], s[16:17], -v[34:35]
	;; [unrolled: 1-line block ×4, first 2 shown]
	v_fma_f64 v[42:43], v[32:33], s[20:21], v[42:43]
	v_fma_f64 v[44:45], v[12:13], s[20:21], v[48:49]
	;; [unrolled: 1-line block ×3, first 2 shown]
	v_add_f64 v[50:51], v[28:29], v[22:23]
	v_add_f64 v[54:55], v[36:37], v[24:25]
	;; [unrolled: 1-line block ×3, first 2 shown]
	v_fma_f64 v[48:49], v[32:33], s[20:21], v[30:31]
	v_fma_f64 v[12:13], v[12:13], s[20:21], v[20:21]
	v_add_f64 v[56:57], v[34:35], v[24:25]
	v_fma_f64 v[14:15], v[32:33], s[20:21], v[14:15]
	v_add_f64 v[32:33], v[38:39], v[22:23]
	v_add_f64 v[34:35], v[40:41], v[24:25]
	;; [unrolled: 1-line block ×3, first 2 shown]
	v_add_f64 v[22:23], v[54:55], -v[42:43]
	v_add3_u32 v40, 0, v78, v79
	v_add_f64 v[24:25], v[12:13], v[36:37]
	v_add_f64 v[26:27], v[56:57], -v[48:49]
	v_add_f64 v[36:37], v[36:37], -v[12:13]
	;; [unrolled: 1-line block ×3, first 2 shown]
	v_add_f64 v[30:31], v[14:15], v[34:35]
	v_add_f64 v[32:33], v[46:47], v[32:33]
	v_add_f64 v[34:35], v[34:35], -v[14:15]
	v_add_f64 v[38:39], v[48:49], v[56:57]
	v_add_f64 v[12:13], v[50:51], -v[44:45]
	v_add_f64 v[14:15], v[42:43], v[54:55]
	ds_write_b128 v40, v[16:19]
	ds_write_b128 v40, v[20:23] offset:160
	ds_write_b128 v40, v[24:27] offset:320
	;; [unrolled: 1-line block ×6, first 2 shown]
	s_waitcnt lgkmcnt(0)
	; wave barrier
	s_waitcnt lgkmcnt(0)
	ds_read_b128 v[24:27], v110
	ds_read_b128 v[28:31], v110 offset:1120
	ds_read_b128 v[32:35], v110 offset:2240
	;; [unrolled: 1-line block ×5, first 2 shown]
	v_cmp_gt_u32_e64 s[0:1], 10, v111
                                        ; implicit-def: $vgpr22_vgpr23
                                        ; implicit-def: $vgpr18_vgpr19
	s_and_saveexec_b64 s[4:5], s[0:1]
	s_cbranch_execz .LBB0_15
; %bb.14:
	ds_read_b128 v[12:15], v110 offset:960
	ds_read_b128 v[0:3], v110 offset:2080
	;; [unrolled: 1-line block ×6, first 2 shown]
.LBB0_15:
	s_or_b64 exec, exec, s[4:5]
	v_mul_u32_u24_e32 v48, 5, v111
	v_lshlrev_b32_e32 v70, 4, v48
	global_load_dwordx4 v[48:51], v70, s[8:9] offset:960
	global_load_dwordx4 v[54:57], v70, s[8:9] offset:976
	;; [unrolled: 1-line block ×5, first 2 shown]
	s_mov_b32 s4, 0xe8584caa
	s_mov_b32 s5, 0x3febb67a
	;; [unrolled: 1-line block ×4, first 2 shown]
	s_waitcnt lgkmcnt(0)
	; wave barrier
	s_waitcnt vmcnt(4) lgkmcnt(0)
	v_mul_f64 v[70:71], v[30:31], v[50:51]
	v_mul_f64 v[50:51], v[28:29], v[50:51]
	s_waitcnt vmcnt(2)
	v_mul_f64 v[74:75], v[42:43], v[60:61]
	v_mul_f64 v[60:61], v[40:41], v[60:61]
	s_waitcnt vmcnt(1)
	v_mul_f64 v[76:77], v[44:45], v[64:65]
	v_mul_f64 v[64:65], v[46:47], v[64:65]
	;; [unrolled: 1-line block ×4, first 2 shown]
	s_waitcnt vmcnt(0)
	v_mul_f64 v[78:79], v[38:39], v[68:69]
	v_mul_f64 v[68:69], v[36:37], v[68:69]
	v_fma_f64 v[40:41], v[40:41], v[58:59], -v[74:75]
	v_fma_f64 v[42:43], v[42:43], v[58:59], v[60:61]
	v_fma_f64 v[46:47], v[46:47], v[62:63], v[76:77]
	v_fma_f64 v[44:45], v[44:45], v[62:63], -v[64:65]
	v_fma_f64 v[28:29], v[28:29], v[48:49], -v[70:71]
	v_fma_f64 v[30:31], v[30:31], v[48:49], v[50:51]
	v_fma_f64 v[32:33], v[32:33], v[54:55], -v[72:73]
	v_fma_f64 v[34:35], v[34:35], v[54:55], v[56:57]
	;; [unrolled: 2-line block ×3, first 2 shown]
	v_add_f64 v[48:49], v[42:43], v[46:47]
	v_add_f64 v[50:51], v[40:41], v[44:45]
	v_add_f64 v[62:63], v[42:43], -v[46:47]
	v_add_f64 v[64:65], v[40:41], -v[44:45]
	v_add_f64 v[54:55], v[24:25], v[32:33]
	v_add_f64 v[60:61], v[26:27], v[34:35]
	v_add_f64 v[56:57], v[32:33], v[36:37]
	v_add_f64 v[58:59], v[34:35], -v[38:39]
	v_fma_f64 v[48:49], v[48:49], -0.5, v[30:31]
	v_fma_f64 v[50:51], v[50:51], -0.5, v[28:29]
	v_add_f64 v[34:35], v[34:35], v[38:39]
	v_add_f64 v[28:29], v[28:29], v[40:41]
	;; [unrolled: 1-line block ×3, first 2 shown]
	v_add_f64 v[32:33], v[32:33], -v[36:37]
	v_fma_f64 v[24:25], v[56:57], -0.5, v[24:25]
	v_add_f64 v[36:37], v[54:55], v[36:37]
	v_fma_f64 v[40:41], v[64:65], s[6:7], v[48:49]
	v_fma_f64 v[42:43], v[62:63], s[6:7], v[50:51]
	;; [unrolled: 1-line block ×4, first 2 shown]
	v_fma_f64 v[26:27], v[34:35], -0.5, v[26:27]
	v_add_f64 v[30:31], v[30:31], v[46:47]
	v_add_f64 v[28:29], v[28:29], v[44:45]
	;; [unrolled: 1-line block ×3, first 2 shown]
	v_mul_f64 v[34:35], v[40:41], s[4:5]
	v_mul_f64 v[44:45], v[42:43], -0.5
	v_mul_f64 v[46:47], v[50:51], s[6:7]
	v_mul_f64 v[54:55], v[48:49], -0.5
	v_fma_f64 v[56:57], v[58:59], s[4:5], v[24:25]
	v_fma_f64 v[60:61], v[32:33], s[6:7], v[26:27]
	;; [unrolled: 1-line block ×4, first 2 shown]
	v_fma_f64 v[50:51], v[50:51], 0.5, v[34:35]
	v_fma_f64 v[44:45], v[48:49], s[4:5], v[44:45]
	v_fma_f64 v[46:47], v[40:41], 0.5, v[46:47]
	v_fma_f64 v[48:49], v[42:43], s[6:7], v[54:55]
	v_add_f64 v[24:25], v[36:37], v[28:29]
	v_add_f64 v[26:27], v[38:39], v[30:31]
	v_add_f64 v[28:29], v[36:37], -v[28:29]
	v_add_f64 v[30:31], v[38:39], -v[30:31]
	v_add_f64 v[32:33], v[56:57], v[50:51]
	v_add_f64 v[36:37], v[58:59], v[44:45]
	;; [unrolled: 1-line block ×4, first 2 shown]
	v_add_f64 v[40:41], v[56:57], -v[50:51]
	v_add_f64 v[42:43], v[60:61], -v[46:47]
	;; [unrolled: 1-line block ×4, first 2 shown]
	ds_write_b128 v110, v[24:27]
	ds_write_b128 v110, v[28:31] offset:3360
	ds_write_b128 v110, v[32:35] offset:1120
	;; [unrolled: 1-line block ×5, first 2 shown]
	s_and_saveexec_b64 s[10:11], s[0:1]
	s_cbranch_execz .LBB0_17
; %bb.16:
	v_add_u32_e32 v24, -10, v111
	v_cndmask_b32_e64 v24, v24, v112, s[0:1]
	v_mul_i32_i24_e32 v24, 5, v24
	v_mov_b32_e32 v25, 0
	v_lshlrev_b64 v[24:25], 4, v[24:25]
	v_mov_b32_e32 v26, s9
	v_add_co_u32_e64 v44, s[0:1], s8, v24
	v_addc_co_u32_e64 v45, s[0:1], v26, v25, s[0:1]
	global_load_dwordx4 v[24:27], v[44:45], off offset:976
	global_load_dwordx4 v[28:31], v[44:45], off offset:1008
	;; [unrolled: 1-line block ×5, first 2 shown]
	s_waitcnt vmcnt(4)
	v_mul_f64 v[44:45], v[6:7], v[26:27]
	s_waitcnt vmcnt(3)
	v_mul_f64 v[46:47], v[18:19], v[30:31]
	;; [unrolled: 2-line block ×3, first 2 shown]
	v_mul_f64 v[34:35], v[8:9], v[34:35]
	s_waitcnt vmcnt(1)
	v_mul_f64 v[50:51], v[20:21], v[38:39]
	v_mul_f64 v[38:39], v[22:23], v[38:39]
	;; [unrolled: 1-line block ×4, first 2 shown]
	s_waitcnt vmcnt(0)
	v_mul_f64 v[54:55], v[2:3], v[42:43]
	v_mul_f64 v[42:43], v[0:1], v[42:43]
	v_fma_f64 v[8:9], v[8:9], v[32:33], -v[48:49]
	v_fma_f64 v[10:11], v[10:11], v[32:33], v[34:35]
	v_fma_f64 v[22:23], v[22:23], v[36:37], v[50:51]
	v_fma_f64 v[20:21], v[20:21], v[36:37], -v[38:39]
	v_fma_f64 v[4:5], v[4:5], v[24:25], -v[44:45]
	v_fma_f64 v[6:7], v[6:7], v[24:25], v[26:27]
	v_fma_f64 v[18:19], v[18:19], v[28:29], v[30:31]
	v_fma_f64 v[0:1], v[0:1], v[40:41], -v[54:55]
	v_fma_f64 v[2:3], v[2:3], v[40:41], v[42:43]
	v_fma_f64 v[16:17], v[16:17], v[28:29], -v[46:47]
	v_add_f64 v[24:25], v[10:11], v[22:23]
	v_add_f64 v[26:27], v[8:9], v[20:21]
	v_add_f64 v[32:33], v[10:11], -v[22:23]
	v_add_f64 v[34:35], v[8:9], -v[20:21]
	v_add_f64 v[30:31], v[6:7], v[18:19]
	v_add_f64 v[36:37], v[14:15], v[6:7]
	;; [unrolled: 1-line block ×3, first 2 shown]
	v_add_f64 v[28:29], v[4:5], -v[16:17]
	v_fma_f64 v[2:3], v[24:25], -0.5, v[2:3]
	v_fma_f64 v[24:25], v[26:27], -0.5, v[0:1]
	v_add_f64 v[26:27], v[4:5], v[16:17]
	v_add_f64 v[4:5], v[12:13], v[4:5]
	;; [unrolled: 1-line block ×3, first 2 shown]
	v_fma_f64 v[8:9], v[30:31], -0.5, v[14:15]
	v_add_f64 v[10:11], v[10:11], v[22:23]
	v_add_f64 v[6:7], v[6:7], -v[18:19]
	v_fma_f64 v[22:23], v[34:35], s[6:7], v[2:3]
	v_fma_f64 v[30:31], v[32:33], s[4:5], v[24:25]
	v_add_f64 v[14:15], v[36:37], v[18:19]
	v_fma_f64 v[18:19], v[34:35], s[4:5], v[2:3]
	v_fma_f64 v[24:25], v[32:33], s[6:7], v[24:25]
	v_fma_f64 v[12:13], v[26:27], -0.5, v[12:13]
	v_add_f64 v[4:5], v[4:5], v[16:17]
	v_add_f64 v[16:17], v[0:1], v[20:21]
	v_fma_f64 v[26:27], v[28:29], s[4:5], v[8:9]
	v_mul_f64 v[20:21], v[30:31], s[6:7]
	v_fma_f64 v[8:9], v[28:29], s[6:7], v[8:9]
	v_mul_f64 v[28:29], v[22:23], s[4:5]
	v_mul_f64 v[0:1], v[18:19], -0.5
	v_mul_f64 v[32:33], v[24:25], -0.5
	v_fma_f64 v[34:35], v[6:7], s[6:7], v[12:13]
	v_fma_f64 v[12:13], v[6:7], s[4:5], v[12:13]
	v_add_f64 v[6:7], v[14:15], v[10:11]
	v_fma_f64 v[20:21], v[22:23], 0.5, v[20:21]
	v_add_f64 v[2:3], v[14:15], -v[10:11]
	v_fma_f64 v[28:29], v[30:31], 0.5, v[28:29]
	v_fma_f64 v[24:25], v[24:25], s[6:7], v[0:1]
	v_fma_f64 v[30:31], v[18:19], s[4:5], v[32:33]
	v_add_f64 v[0:1], v[4:5], -v[16:17]
	v_add_f64 v[4:5], v[4:5], v[16:17]
	v_add_f64 v[14:15], v[8:9], -v[20:21]
	v_add_f64 v[22:23], v[8:9], v[20:21]
	v_add_f64 v[20:21], v[12:13], v[28:29]
	;; [unrolled: 1-line block ×4, first 2 shown]
	v_add_f64 v[12:13], v[12:13], -v[28:29]
	v_add_f64 v[10:11], v[26:27], -v[24:25]
	;; [unrolled: 1-line block ×3, first 2 shown]
	ds_write_b128 v110, v[4:7] offset:960
	ds_write_b128 v110, v[0:3] offset:4320
	;; [unrolled: 1-line block ×6, first 2 shown]
.LBB0_17:
	s_or_b64 exec, exec, s[10:11]
	s_waitcnt lgkmcnt(0)
	; wave barrier
	s_waitcnt lgkmcnt(0)
	s_and_saveexec_b64 s[0:1], vcc
	s_cbranch_execz .LBB0_19
; %bb.18:
	v_mad_u64_u32 v[0:1], s[0:1], s2, v111, 0
	v_mad_u64_u32 v[8:9], s[0:1], s2, v112, 0
	;; [unrolled: 1-line block ×3, first 2 shown]
	v_mov_b32_e32 v2, s13
	v_add_co_u32_e32 v15, vcc, s12, v52
	v_lshlrev_b64 v[0:1], 4, v[0:1]
	v_addc_co_u32_e32 v16, vcc, v2, v53, vcc
	v_add_co_u32_e32 v10, vcc, v15, v0
	v_mov_b32_e32 v0, v9
	v_mad_u64_u32 v[12:13], s[0:1], s3, v112, v[0:1]
	v_add_u32_e32 v17, 0x78, v111
	v_addc_co_u32_e32 v11, vcc, v16, v1, vcc
	ds_read_b128 v[0:3], v110
	ds_read_b128 v[4:7], v110 offset:960
	v_mad_u64_u32 v[13:14], s[0:1], s2, v17, 0
	v_mov_b32_e32 v9, v12
	s_waitcnt lgkmcnt(1)
	global_store_dwordx4 v[10:11], v[0:3], off
	s_nop 0
	v_mov_b32_e32 v2, v14
	v_mad_u64_u32 v[2:3], s[0:1], s3, v17, v[2:3]
	v_lshlrev_b64 v[0:1], 4, v[8:9]
	v_add_u32_e32 v17, 0xf0, v111
	v_mov_b32_e32 v14, v2
	v_add_u32_e32 v2, 0xb4, v111
	v_add_co_u32_e32 v0, vcc, v15, v0
	v_mad_u64_u32 v[8:9], s[0:1], s2, v2, 0
	v_addc_co_u32_e32 v1, vcc, v16, v1, vcc
	s_waitcnt lgkmcnt(0)
	global_store_dwordx4 v[0:1], v[4:7], off
	v_lshlrev_b64 v[0:1], 4, v[13:14]
	v_add_co_u32_e32 v10, vcc, v15, v0
	v_mov_b32_e32 v0, v9
	v_mad_u64_u32 v[12:13], s[0:1], s3, v2, v[0:1]
	v_addc_co_u32_e32 v11, vcc, v16, v1, vcc
	ds_read_b128 v[0:3], v110 offset:1920
	ds_read_b128 v[4:7], v110 offset:2880
	v_mad_u64_u32 v[13:14], s[0:1], s2, v17, 0
	v_mov_b32_e32 v9, v12
	s_waitcnt lgkmcnt(1)
	global_store_dwordx4 v[10:11], v[0:3], off
	s_nop 0
	v_mov_b32_e32 v2, v14
	v_mad_u64_u32 v[2:3], s[0:1], s3, v17, v[2:3]
	v_lshlrev_b64 v[0:1], 4, v[8:9]
	v_add_u32_e32 v17, 0x168, v111
	v_mov_b32_e32 v14, v2
	v_add_u32_e32 v2, 0x12c, v111
	v_add_co_u32_e32 v0, vcc, v15, v0
	v_mad_u64_u32 v[8:9], s[0:1], s2, v2, 0
	v_addc_co_u32_e32 v1, vcc, v16, v1, vcc
	s_waitcnt lgkmcnt(0)
	global_store_dwordx4 v[0:1], v[4:7], off
	v_lshlrev_b64 v[0:1], 4, v[13:14]
	v_add_co_u32_e32 v10, vcc, v15, v0
	v_mov_b32_e32 v0, v9
	v_mad_u64_u32 v[12:13], s[0:1], s3, v2, v[0:1]
	v_addc_co_u32_e32 v11, vcc, v16, v1, vcc
	ds_read_b128 v[0:3], v110 offset:3840
	ds_read_b128 v[4:7], v110 offset:4800
	v_mad_u64_u32 v[13:14], s[0:1], s2, v17, 0
	v_mov_b32_e32 v9, v12
	s_waitcnt lgkmcnt(1)
	global_store_dwordx4 v[10:11], v[0:3], off
	s_nop 0
	v_mov_b32_e32 v2, v14
	v_lshlrev_b64 v[0:1], 4, v[8:9]
	v_mad_u64_u32 v[2:3], s[0:1], s3, v17, v[2:3]
	v_add_co_u32_e32 v0, vcc, v15, v0
	v_addc_co_u32_e32 v1, vcc, v16, v1, vcc
	s_waitcnt lgkmcnt(0)
	global_store_dwordx4 v[0:1], v[4:7], off
	v_mov_b32_e32 v14, v2
	ds_read_b128 v[0:3], v110 offset:5760
	v_lshlrev_b64 v[4:5], 4, v[13:14]
	v_add_co_u32_e32 v4, vcc, v15, v4
	v_addc_co_u32_e32 v5, vcc, v16, v5, vcc
	s_waitcnt lgkmcnt(0)
	global_store_dwordx4 v[4:5], v[0:3], off
.LBB0_19:
	s_endpgm
	.section	.rodata,"a",@progbits
	.p2align	6, 0x0
	.amdhsa_kernel fft_rtc_fwd_len420_factors_10_7_6_wgs_60_tpt_60_dp_ip_CI_sbrr_dirReg
		.amdhsa_group_segment_fixed_size 0
		.amdhsa_private_segment_fixed_size 0
		.amdhsa_kernarg_size 88
		.amdhsa_user_sgpr_count 6
		.amdhsa_user_sgpr_private_segment_buffer 1
		.amdhsa_user_sgpr_dispatch_ptr 0
		.amdhsa_user_sgpr_queue_ptr 0
		.amdhsa_user_sgpr_kernarg_segment_ptr 1
		.amdhsa_user_sgpr_dispatch_id 0
		.amdhsa_user_sgpr_flat_scratch_init 0
		.amdhsa_user_sgpr_private_segment_size 0
		.amdhsa_uses_dynamic_stack 0
		.amdhsa_system_sgpr_private_segment_wavefront_offset 0
		.amdhsa_system_sgpr_workgroup_id_x 1
		.amdhsa_system_sgpr_workgroup_id_y 0
		.amdhsa_system_sgpr_workgroup_id_z 0
		.amdhsa_system_sgpr_workgroup_info 0
		.amdhsa_system_vgpr_workitem_id 0
		.amdhsa_next_free_vgpr 119
		.amdhsa_next_free_sgpr 24
		.amdhsa_reserve_vcc 1
		.amdhsa_reserve_flat_scratch 0
		.amdhsa_float_round_mode_32 0
		.amdhsa_float_round_mode_16_64 0
		.amdhsa_float_denorm_mode_32 3
		.amdhsa_float_denorm_mode_16_64 3
		.amdhsa_dx10_clamp 1
		.amdhsa_ieee_mode 1
		.amdhsa_fp16_overflow 0
		.amdhsa_exception_fp_ieee_invalid_op 0
		.amdhsa_exception_fp_denorm_src 0
		.amdhsa_exception_fp_ieee_div_zero 0
		.amdhsa_exception_fp_ieee_overflow 0
		.amdhsa_exception_fp_ieee_underflow 0
		.amdhsa_exception_fp_ieee_inexact 0
		.amdhsa_exception_int_div_zero 0
	.end_amdhsa_kernel
	.text
.Lfunc_end0:
	.size	fft_rtc_fwd_len420_factors_10_7_6_wgs_60_tpt_60_dp_ip_CI_sbrr_dirReg, .Lfunc_end0-fft_rtc_fwd_len420_factors_10_7_6_wgs_60_tpt_60_dp_ip_CI_sbrr_dirReg
                                        ; -- End function
	.section	.AMDGPU.csdata,"",@progbits
; Kernel info:
; codeLenInByte = 6516
; NumSgprs: 28
; NumVgprs: 119
; ScratchSize: 0
; MemoryBound: 0
; FloatMode: 240
; IeeeMode: 1
; LDSByteSize: 0 bytes/workgroup (compile time only)
; SGPRBlocks: 3
; VGPRBlocks: 29
; NumSGPRsForWavesPerEU: 28
; NumVGPRsForWavesPerEU: 119
; Occupancy: 2
; WaveLimiterHint : 1
; COMPUTE_PGM_RSRC2:SCRATCH_EN: 0
; COMPUTE_PGM_RSRC2:USER_SGPR: 6
; COMPUTE_PGM_RSRC2:TRAP_HANDLER: 0
; COMPUTE_PGM_RSRC2:TGID_X_EN: 1
; COMPUTE_PGM_RSRC2:TGID_Y_EN: 0
; COMPUTE_PGM_RSRC2:TGID_Z_EN: 0
; COMPUTE_PGM_RSRC2:TIDIG_COMP_CNT: 0
	.type	__hip_cuid_866680aa180ae0ca,@object ; @__hip_cuid_866680aa180ae0ca
	.section	.bss,"aw",@nobits
	.globl	__hip_cuid_866680aa180ae0ca
__hip_cuid_866680aa180ae0ca:
	.byte	0                               ; 0x0
	.size	__hip_cuid_866680aa180ae0ca, 1

	.ident	"AMD clang version 19.0.0git (https://github.com/RadeonOpenCompute/llvm-project roc-6.4.0 25133 c7fe45cf4b819c5991fe208aaa96edf142730f1d)"
	.section	".note.GNU-stack","",@progbits
	.addrsig
	.addrsig_sym __hip_cuid_866680aa180ae0ca
	.amdgpu_metadata
---
amdhsa.kernels:
  - .args:
      - .actual_access:  read_only
        .address_space:  global
        .offset:         0
        .size:           8
        .value_kind:     global_buffer
      - .offset:         8
        .size:           8
        .value_kind:     by_value
      - .actual_access:  read_only
        .address_space:  global
        .offset:         16
        .size:           8
        .value_kind:     global_buffer
      - .actual_access:  read_only
        .address_space:  global
        .offset:         24
        .size:           8
        .value_kind:     global_buffer
      - .offset:         32
        .size:           8
        .value_kind:     by_value
      - .actual_access:  read_only
        .address_space:  global
        .offset:         40
        .size:           8
        .value_kind:     global_buffer
      - .actual_access:  read_only
        .address_space:  global
        .offset:         48
        .size:           8
        .value_kind:     global_buffer
      - .offset:         56
        .size:           4
        .value_kind:     by_value
      - .actual_access:  read_only
        .address_space:  global
        .offset:         64
        .size:           8
        .value_kind:     global_buffer
      - .actual_access:  read_only
        .address_space:  global
        .offset:         72
        .size:           8
        .value_kind:     global_buffer
      - .address_space:  global
        .offset:         80
        .size:           8
        .value_kind:     global_buffer
    .group_segment_fixed_size: 0
    .kernarg_segment_align: 8
    .kernarg_segment_size: 88
    .language:       OpenCL C
    .language_version:
      - 2
      - 0
    .max_flat_workgroup_size: 60
    .name:           fft_rtc_fwd_len420_factors_10_7_6_wgs_60_tpt_60_dp_ip_CI_sbrr_dirReg
    .private_segment_fixed_size: 0
    .sgpr_count:     28
    .sgpr_spill_count: 0
    .symbol:         fft_rtc_fwd_len420_factors_10_7_6_wgs_60_tpt_60_dp_ip_CI_sbrr_dirReg.kd
    .uniform_work_group_size: 1
    .uses_dynamic_stack: false
    .vgpr_count:     119
    .vgpr_spill_count: 0
    .wavefront_size: 64
amdhsa.target:   amdgcn-amd-amdhsa--gfx906
amdhsa.version:
  - 1
  - 2
...

	.end_amdgpu_metadata
